;; amdgpu-corpus repo=ROCm/bitsandbytes kind=harvested arch=n/a opt=n/a
	.text
	.amdgcn_target "amdgcn-amd-amdhsa--gfx90a"
	.amdhsa_code_object_version 6
	.protected	_Z38kPreconditionOptimizerStatic8bit1StateI6__halfLi1EEvPT_S2_PhPffffiS4_S4_S4_ffi ; -- Begin function _Z38kPreconditionOptimizerStatic8bit1StateI6__halfLi1EEvPT_S2_PhPffffiS4_S4_S4_ffi
	.globl	_Z38kPreconditionOptimizerStatic8bit1StateI6__halfLi1EEvPT_S2_PhPffffiS4_S4_S4_ffi
	.p2align	8
	.type	_Z38kPreconditionOptimizerStatic8bit1StateI6__halfLi1EEvPT_S2_PhPffffiS4_S4_S4_ffi,@function
_Z38kPreconditionOptimizerStatic8bit1StateI6__halfLi1EEvPT_S2_PhPffffiS4_S4_S4_ffi: ; @_Z38kPreconditionOptimizerStatic8bit1StateI6__halfLi1EEvPT_S2_PhPffffiS4_S4_S4_ffi
; %bb.0:
	s_load_dword s2, s[4:5], 0x58
	s_load_dword s3, s[4:5], 0x64
	s_movk_i32 s0, 0x100
	v_cmp_gt_u32_e32 vcc, s0, v0
	s_and_saveexec_b64 s[0:1], vcc
	s_cbranch_execz .LBB74_2
; %bb.1:
	s_load_dwordx2 s[8:9], s[4:5], 0x30
	v_lshlrev_b32_e32 v1, 2, v0
	s_waitcnt lgkmcnt(0)
	global_load_dword v2, v1, s[8:9]
	s_waitcnt vmcnt(0)
	ds_write_b32 v1, v2 offset:8448
.LBB74_2:
	s_or_b64 exec, exec, s[0:1]
	s_load_dword s7, s[4:5], 0x50
	s_waitcnt lgkmcnt(0)
	s_and_b32 s0, 0xffff, s3
	s_mul_i32 s0, s6, s0
	s_lshl_b32 s44, s2, 12
	s_lshl_b32 s8, s0, 2
	s_cmp_lt_u32 s8, s44
	s_mov_b32 s2, 0
	v_mbcnt_lo_u32_b32 v1, -1, 0
	s_barrier
	s_cbranch_scc1 .LBB74_4
; %bb.3:
	s_lshl_b32 s0, s6, 12
	s_sub_i32 s0, s7, s0
	s_min_u32 s33, s0, 0x1000
	v_and_b32_e32 v29, 0xc0, v0
	s_mov_b64 s[0:1], 0
	s_mov_b32 s3, 0xff7fffff
	s_branch .LBB74_5
.LBB74_4:
	s_mov_b64 s[0:1], -1
                                        ; implicit-def: $sgpr2
                                        ; implicit-def: $sgpr3
                                        ; implicit-def: $sgpr33
                                        ; implicit-def: $vgpr29
.LBB74_5:
	s_load_dwordx2 s[38:39], s[4:5], 0x18
	s_load_dwordx4 s[40:43], s[4:5], 0x38
	v_mbcnt_hi_u32_b32 v1, -1, v1
	s_andn2_b64 vcc, exec, s[0:1]
	v_mov_b32_e32 v14, s2
	v_mov_b32_e32 v71, s3
	s_cbranch_vccnz .LBB74_72
; %bb.6:
	s_load_dwordx4 s[0:3], s[4:5], 0x8
	s_load_dword s45, s[4:5], 0x20
	s_load_dword s6, s[4:5], 0x2c
	v_lshlrev_b32_e32 v2, 4, v0
	v_lshlrev_b32_e32 v3, 1, v1
	v_and_b32_e32 v2, 0xc00, v2
	s_waitcnt lgkmcnt(0)
	v_mov_b32_e32 v4, s1
	v_add_co_u32_e32 v3, vcc, s0, v3
	v_addc_co_u32_e32 v4, vcc, 0, v4, vcc
	v_lshlrev_b32_e32 v5, 1, v2
	v_or_b32_e32 v17, v1, v2
	v_add_co_u32_e32 v15, vcc, v3, v5
	v_lshrrev_b32_e32 v3, 5, v17
	v_addc_co_u32_e32 v16, vcc, 0, v4, vcc
	v_add_u32_e32 v18, 64, v17
	v_and_b32_e32 v4, 0x62, v3
	v_add_lshl_u32 v34, v4, v17, 1
	v_lshrrev_b32_e32 v4, 5, v18
	v_or_b32_e32 v19, 0x80, v17
	v_and_b32_e32 v5, 0x66, v4
	v_add_lshl_u32 v35, v5, v18, 1
	v_lshrrev_b32_e32 v5, 5, v19
	v_add_u32_e32 v20, 0xc0, v17
	v_and_b32_e32 v6, 0x66, v5
	v_add_lshl_u32 v36, v6, v19, 1
	v_lshrrev_b32_e32 v6, 5, v20
	v_or_b32_e32 v21, 0x100, v17
	v_and_b32_e32 v7, 0x6e, v6
	v_add_lshl_u32 v37, v7, v20, 1
	v_lshrrev_b32_e32 v7, 5, v21
	;; [unrolled: 8-line block ×3, first 2 shown]
	v_add_u32_e32 v24, 0x1c0, v17
	v_and_b32_e32 v10, 0x6e, v9
	v_mov_b32_e32 v51, s3
	v_add_co_u32_e32 v52, vcc, s2, v1
	v_add_lshl_u32 v40, v10, v23, 1
	v_lshrrev_b32_e32 v10, 5, v24
	v_addc_co_u32_e32 v53, vcc, 0, v51, vcc
	v_or_b32_e32 v25, 0x200, v17
	v_and_b32_e32 v11, 0x7e, v10
	v_add_co_u32_e32 v51, vcc, v52, v2
	v_and_b32_e32 v2, 0x60, v3
	v_add_lshl_u32 v41, v11, v24, 1
	v_lshrrev_b32_e32 v11, 5, v25
	v_addc_co_u32_e32 v52, vcc, 0, v53, vcc
	v_add_u32_e32 v53, v2, v17
	v_and_b32_e32 v2, 0x64, v4
	v_add_u32_e32 v26, 0x240, v17
	v_and_b32_e32 v12, 0x72, v11
	;; [unrolled: 2-line block ×3, first 2 shown]
	v_add_lshl_u32 v42, v12, v25, 1
	v_lshrrev_b32_e32 v12, 5, v26
	v_add_u32_e32 v55, v2, v19
	v_and_b32_e32 v2, 0x6c, v6
	v_or_b32_e32 v27, 0x280, v17
	v_and_b32_e32 v13, 0x76, v12
	v_add_u32_e32 v56, v2, v20
	v_and_b32_e32 v2, 0x68, v7
	v_add_lshl_u32 v43, v13, v26, 1
	v_lshrrev_b32_e32 v13, 5, v27
	v_add_u32_e32 v57, v2, v21
	v_and_b32_e32 v2, 0x6c, v8
	v_add_u32_e32 v28, 0x2c0, v17
	v_and_b32_e32 v14, 0x76, v13
	;; [unrolled: 2-line block ×3, first 2 shown]
	v_or_b32_e32 v30, 0x300, v17
	v_add_lshl_u32 v44, v14, v27, 1
	v_lshrrev_b32_e32 v14, 5, v28
	v_add_u32_e32 v59, v2, v23
	v_and_b32_e32 v2, 0x7c, v10
	v_add_u32_e32 v31, 0x340, v17
	v_and_b32_e32 v29, 0x7e, v14
	v_lshrrev_b32_e32 v65, 5, v30
	v_add_u32_e32 v60, v2, v24
	v_and_b32_e32 v2, 0x70, v11
	v_or_b32_e32 v32, 0x380, v17
	v_add_lshl_u32 v45, v29, v28, 1
	v_and_b32_e32 v29, 0x7a, v65
	v_lshrrev_b32_e32 v66, 5, v31
	v_add_u32_e32 v61, v2, v25
	v_and_b32_e32 v2, 0x74, v12
	v_add_u32_e32 v33, 0x3c0, v17
	v_add_lshl_u32 v46, v29, v30, 1
	v_and_b32_e32 v29, 0x7e, v66
	v_lshrrev_b32_e32 v67, 5, v32
	v_add_u32_e32 v62, v2, v26
	v_and_b32_e32 v2, 0x74, v13
	v_add_lshl_u32 v47, v29, v31, 1
	v_and_b32_e32 v29, 0x7e, v67
	v_lshrrev_b32_e32 v68, 5, v33
	v_add_u32_e32 v63, v2, v27
	v_and_b32_e32 v2, 0x7c, v14
	v_add_lshl_u32 v48, v29, v32, 1
	v_and_b32_e32 v29, 0xfe, v68
	v_add_u32_e32 v64, v2, v28
	v_and_b32_e32 v2, 0x78, v65
	v_add_lshl_u32 v49, v29, v33, 1
	v_and_b32_e32 v29, 0xc0, v0
	v_add_u32_e32 v65, v2, v30
	v_and_b32_e32 v2, 0x7c, v66
	v_add_u32_e32 v50, v1, v29
	v_add_u32_e32 v66, v2, v31
	v_and_b32_e32 v2, 0x7c, v67
	v_bfe_u32 v70, v50, 1, 27
	v_add_u32_e32 v67, v2, v32
	v_and_b32_e32 v2, 0xfc, v68
	s_cmp_eq_u32 s6, 1
	v_lshlrev_b32_e32 v69, 4, v50
	v_and_b32_e32 v50, 0xfe, v70
	v_add_u32_e32 v68, v2, v33
	v_and_b32_e32 v2, 0xfc, v70
	s_cselect_b64 s[0:1], -1, 0
	s_cmp_eq_u64 s[38:39], 0
	v_mov_b32_e32 v11, 0
	v_add_lshl_u32 v50, v50, v69, 1
	v_add_u32_e32 v69, v2, v69
	s_cselect_b64 s[2:3], -1, 0
	s_sub_i32 s46, s7, s8
	v_mov_b32_e32 v10, s8
	v_mov_b32_e32 v71, 0xff7fffff
	;; [unrolled: 1-line block ×4, first 2 shown]
	s_branch .LBB74_8
.LBB74_7:                               ;   in Loop: Header=BB74_8 Depth=1
	s_or_b64 exec, exec, s[4:5]
	s_waitcnt vmcnt(0)
	ds_write_b8 v53, v73
	ds_write_b8 v54, v87
	;; [unrolled: 1-line block ×16, first 2 shown]
	; wave barrier
	ds_read_b128 v[72:75], v69
	s_load_dword s4, s[40:41], 0x0
	v_cvt_f32_f16_e32 v13, v6
	v_add_co_u32_e32 v10, vcc, s44, v10
	s_waitcnt lgkmcnt(0)
	v_lshlrev_b32_sdwa v12, v70, v72 dst_sel:DWORD dst_unused:UNUSED_PAD src0_sel:DWORD src1_sel:BYTE_0
	v_lshlrev_b32_sdwa v76, v70, v72 dst_sel:DWORD dst_unused:UNUSED_PAD src0_sel:DWORD src1_sel:BYTE_1
	v_lshlrev_b32_sdwa v77, v70, v72 dst_sel:DWORD dst_unused:UNUSED_PAD src0_sel:DWORD src1_sel:BYTE_2
	v_lshlrev_b32_sdwa v72, v70, v72 dst_sel:DWORD dst_unused:UNUSED_PAD src0_sel:DWORD src1_sel:BYTE_3
	v_lshlrev_b32_sdwa v78, v70, v73 dst_sel:DWORD dst_unused:UNUSED_PAD src0_sel:DWORD src1_sel:BYTE_0
	v_lshlrev_b32_sdwa v79, v70, v73 dst_sel:DWORD dst_unused:UNUSED_PAD src0_sel:DWORD src1_sel:BYTE_1
	v_lshlrev_b32_sdwa v80, v70, v73 dst_sel:DWORD dst_unused:UNUSED_PAD src0_sel:DWORD src1_sel:BYTE_2
	v_lshlrev_b32_sdwa v73, v70, v73 dst_sel:DWORD dst_unused:UNUSED_PAD src0_sel:DWORD src1_sel:BYTE_3
	ds_read_b32 v12, v12 offset:8448
	ds_read_b32 v76, v76 offset:8448
	;; [unrolled: 1-line block ×8, first 2 shown]
	s_waitcnt lgkmcnt(7)
	v_mul_f32_e32 v12, s4, v12
	v_fma_mix_f32 v12, v12, s45, v6 op_sel_hi:[0,0,1]
	v_cndmask_b32_e64 v12, v12, v13, s[0:1]
	v_cvt_f32_f16_sdwa v13, v6 dst_sel:DWORD dst_unused:UNUSED_PAD src0_sel:WORD_1
	s_waitcnt lgkmcnt(6)
	v_mul_f32_e32 v76, s4, v76
	v_fma_mix_f32 v6, v76, s45, v6 op_sel:[0,0,1] op_sel_hi:[0,0,1]
	v_fma_f32 v81, v12, v12, v14
	v_cndmask_b32_e64 v6, v6, v13, s[0:1]
	v_cvt_f32_f16_e32 v13, v7
	v_fmac_f32_e32 v81, v6, v6
	v_max3_f32 v6, v71, |v12|, |v6|
	s_waitcnt lgkmcnt(5)
	v_mul_f32_e32 v12, s4, v77
	v_fma_mix_f32 v12, v12, s45, v7 op_sel_hi:[0,0,1]
	v_cndmask_b32_e64 v12, v12, v13, s[0:1]
	v_cvt_f32_f16_sdwa v13, v7 dst_sel:DWORD dst_unused:UNUSED_PAD src0_sel:WORD_1
	s_waitcnt lgkmcnt(4)
	v_mul_f32_e32 v71, s4, v72
	v_fma_mix_f32 v7, v71, s45, v7 op_sel:[0,0,1] op_sel_hi:[0,0,1]
	v_fmac_f32_e32 v81, v12, v12
	v_cndmask_b32_e64 v7, v7, v13, s[0:1]
	v_cvt_f32_f16_e32 v13, v8
	v_fmac_f32_e32 v81, v7, v7
	v_max3_f32 v6, v6, |v12|, |v7|
	s_waitcnt lgkmcnt(3)
	v_mul_f32_e32 v7, s4, v78
	v_cvt_f32_f16_sdwa v12, v8 dst_sel:DWORD dst_unused:UNUSED_PAD src0_sel:WORD_1
	v_fma_mix_f32 v7, v7, s45, v8 op_sel_hi:[0,0,1]
	v_cndmask_b32_e64 v7, v7, v13, s[0:1]
	s_waitcnt lgkmcnt(2)
	v_mul_f32_e32 v13, s4, v79
	v_fma_mix_f32 v8, v13, s45, v8 op_sel:[0,0,1] op_sel_hi:[0,0,1]
	v_cndmask_b32_e64 v8, v8, v12, s[0:1]
	v_cvt_f32_f16_e32 v12, v9
	v_fmac_f32_e32 v81, v7, v7
	v_fmac_f32_e32 v81, v8, v8
	v_max3_f32 v6, v6, |v7|, |v8|
	s_waitcnt lgkmcnt(1)
	v_mul_f32_e32 v7, s4, v80
	v_cvt_f32_f16_sdwa v8, v9 dst_sel:DWORD dst_unused:UNUSED_PAD src0_sel:WORD_1
	v_fma_mix_f32 v7, v7, s45, v9 op_sel_hi:[0,0,1]
	v_cndmask_b32_e64 v7, v7, v12, s[0:1]
	s_waitcnt lgkmcnt(0)
	v_mul_f32_e32 v12, s4, v73
	v_fma_mix_f32 v9, v12, s45, v9 op_sel:[0,0,1] op_sel_hi:[0,0,1]
	v_fmac_f32_e32 v81, v7, v7
	v_cndmask_b32_e64 v8, v9, v8, s[0:1]
	v_fmac_f32_e32 v81, v8, v8
	v_max3_f32 v6, v6, |v7|, |v8|
	v_lshlrev_b32_sdwa v7, v70, v74 dst_sel:DWORD dst_unused:UNUSED_PAD src0_sel:DWORD src1_sel:BYTE_0
	v_cvt_f32_f16_e32 v8, v2
	v_lshlrev_b32_sdwa v9, v70, v74 dst_sel:DWORD dst_unused:UNUSED_PAD src0_sel:DWORD src1_sel:BYTE_1
	v_lshlrev_b32_sdwa v12, v70, v74 dst_sel:DWORD dst_unused:UNUSED_PAD src0_sel:DWORD src1_sel:BYTE_2
	v_lshlrev_b32_sdwa v13, v70, v74 dst_sel:DWORD dst_unused:UNUSED_PAD src0_sel:DWORD src1_sel:BYTE_3
	v_lshlrev_b32_sdwa v71, v70, v75 dst_sel:DWORD dst_unused:UNUSED_PAD src0_sel:DWORD src1_sel:BYTE_0
	v_lshlrev_b32_sdwa v72, v70, v75 dst_sel:DWORD dst_unused:UNUSED_PAD src0_sel:DWORD src1_sel:BYTE_1
	v_lshlrev_b32_sdwa v73, v70, v75 dst_sel:DWORD dst_unused:UNUSED_PAD src0_sel:DWORD src1_sel:BYTE_2
	v_lshlrev_b32_sdwa v74, v70, v75 dst_sel:DWORD dst_unused:UNUSED_PAD src0_sel:DWORD src1_sel:BYTE_3
	ds_read_b32 v7, v7 offset:8448
	ds_read_b32 v9, v9 offset:8448
	;; [unrolled: 1-line block ×8, first 2 shown]
	s_waitcnt lgkmcnt(7)
	v_mul_f32_e32 v7, s4, v7
	v_fma_mix_f32 v7, v7, s45, v2 op_sel_hi:[0,0,1]
	v_cndmask_b32_e64 v7, v7, v8, s[0:1]
	v_cvt_f32_f16_sdwa v8, v2 dst_sel:DWORD dst_unused:UNUSED_PAD src0_sel:WORD_1
	s_waitcnt lgkmcnt(6)
	v_mul_f32_e32 v9, s4, v9
	v_fma_mix_f32 v2, v9, s45, v2 op_sel:[0,0,1] op_sel_hi:[0,0,1]
	v_fmac_f32_e32 v81, v7, v7
	v_cndmask_b32_e64 v2, v2, v8, s[0:1]
	v_cvt_f32_f16_e32 v8, v3
	v_fmac_f32_e32 v81, v2, v2
	v_max3_f32 v2, v6, |v7|, |v2|
	s_waitcnt lgkmcnt(5)
	v_mul_f32_e32 v6, s4, v12
	v_cvt_f32_f16_sdwa v7, v3 dst_sel:DWORD dst_unused:UNUSED_PAD src0_sel:WORD_1
	v_fma_mix_f32 v6, v6, s45, v3 op_sel_hi:[0,0,1]
	v_cndmask_b32_e64 v6, v6, v8, s[0:1]
	s_waitcnt lgkmcnt(4)
	v_mul_f32_e32 v8, s4, v13
	v_fma_mix_f32 v3, v8, s45, v3 op_sel:[0,0,1] op_sel_hi:[0,0,1]
	v_cndmask_b32_e64 v3, v3, v7, s[0:1]
	v_cvt_f32_f16_e32 v7, v4
	v_fmac_f32_e32 v81, v6, v6
	v_fmac_f32_e32 v81, v3, v3
	v_max3_f32 v2, v2, |v6|, |v3|
	s_waitcnt lgkmcnt(3)
	v_mul_f32_e32 v3, s4, v71
	v_cvt_f32_f16_sdwa v6, v4 dst_sel:DWORD dst_unused:UNUSED_PAD src0_sel:WORD_1
	v_fma_mix_f32 v3, v3, s45, v4 op_sel_hi:[0,0,1]
	v_cndmask_b32_e64 v3, v3, v7, s[0:1]
	s_waitcnt lgkmcnt(2)
	v_mul_f32_e32 v7, s4, v72
	v_fma_mix_f32 v4, v7, s45, v4 op_sel:[0,0,1] op_sel_hi:[0,0,1]
	v_cndmask_b32_e64 v4, v4, v6, s[0:1]
	v_cvt_f32_f16_e32 v6, v5
	v_fmac_f32_e32 v81, v3, v3
	v_fmac_f32_e32 v81, v4, v4
	v_max3_f32 v2, v2, |v3|, |v4|
	s_waitcnt lgkmcnt(1)
	v_mul_f32_e32 v3, s4, v73
	v_cvt_f32_f16_sdwa v4, v5 dst_sel:DWORD dst_unused:UNUSED_PAD src0_sel:WORD_1
	v_fma_mix_f32 v3, v3, s45, v5 op_sel_hi:[0,0,1]
	v_cndmask_b32_e64 v3, v3, v6, s[0:1]
	s_waitcnt lgkmcnt(0)
	v_mul_f32_e32 v6, s4, v74
	v_fma_mix_f32 v5, v6, s45, v5 op_sel:[0,0,1] op_sel_hi:[0,0,1]
	v_fmac_f32_e32 v81, v3, v3
	v_cndmask_b32_e64 v4, v5, v4, s[0:1]
	v_fmac_f32_e32 v81, v4, v4
	v_cndmask_b32_e64 v14, v81, v14, s[2:3]
	v_max3_f32 v71, v2, |v3|, |v4|
	s_andn2_b64 vcc, exec, vcc
	s_sub_i32 s46, s46, s44
	s_cbranch_vccnz .LBB74_72
.LBB74_8:                               ; =>This Inner Loop Header: Depth=1
	v_lshlrev_b64 v[2:3], 1, v[10:11]
	s_min_u32 s33, s46, 0x1000
	v_add_co_u32_e32 v2, vcc, v15, v2
	v_addc_co_u32_e32 v3, vcc, v16, v3, vcc
	v_cmp_gt_u32_e64 s[34:35], s33, v17
	v_mov_b32_e32 v4, 0
	s_barrier
	s_and_saveexec_b64 s[4:5], s[34:35]
	s_cbranch_execz .LBB74_10
; %bb.9:                                ;   in Loop: Header=BB74_8 Depth=1
	global_load_ushort v4, v[2:3], off
.LBB74_10:                              ;   in Loop: Header=BB74_8 Depth=1
	s_or_b64 exec, exec, s[4:5]
	v_cmp_gt_u32_e64 s[30:31], s33, v18
	v_mov_b32_e32 v5, 0
	v_mov_b32_e32 v6, 0
	s_and_saveexec_b64 s[4:5], s[30:31]
	s_cbranch_execz .LBB74_12
; %bb.11:                               ;   in Loop: Header=BB74_8 Depth=1
	global_load_ushort v6, v[2:3], off offset:128
.LBB74_12:                              ;   in Loop: Header=BB74_8 Depth=1
	s_or_b64 exec, exec, s[4:5]
	v_cmp_gt_u32_e64 s[28:29], s33, v19
	s_and_saveexec_b64 s[4:5], s[28:29]
	s_cbranch_execz .LBB74_14
; %bb.13:                               ;   in Loop: Header=BB74_8 Depth=1
	global_load_ushort v5, v[2:3], off offset:256
.LBB74_14:                              ;   in Loop: Header=BB74_8 Depth=1
	s_or_b64 exec, exec, s[4:5]
	v_cmp_gt_u32_e64 s[26:27], s33, v20
	v_mov_b32_e32 v7, 0
	v_mov_b32_e32 v8, 0
	s_and_saveexec_b64 s[4:5], s[26:27]
	s_cbranch_execz .LBB74_16
; %bb.15:                               ;   in Loop: Header=BB74_8 Depth=1
	global_load_ushort v8, v[2:3], off offset:384
.LBB74_16:                              ;   in Loop: Header=BB74_8 Depth=1
	s_or_b64 exec, exec, s[4:5]
	v_cmp_gt_u32_e64 s[24:25], s33, v21
	s_and_saveexec_b64 s[4:5], s[24:25]
	s_cbranch_execz .LBB74_18
; %bb.17:                               ;   in Loop: Header=BB74_8 Depth=1
	global_load_ushort v7, v[2:3], off offset:512
.LBB74_18:                              ;   in Loop: Header=BB74_8 Depth=1
	;; [unrolled: 16-line block ×7, first 2 shown]
	s_or_b64 exec, exec, s[36:37]
	v_cmp_gt_u32_e32 vcc, s33, v33
	v_mov_b32_e32 v79, 0
	s_and_saveexec_b64 s[36:37], vcc
	s_cbranch_execz .LBB74_40
; %bb.39:                               ;   in Loop: Header=BB74_8 Depth=1
	global_load_ushort v79, v[2:3], off offset:1920
.LBB74_40:                              ;   in Loop: Header=BB74_8 Depth=1
	s_or_b64 exec, exec, s[36:37]
	s_waitcnt vmcnt(0)
	ds_write_b16 v34, v4
	ds_write_b16 v35, v6
	;; [unrolled: 1-line block ×16, first 2 shown]
	; wave barrier
	ds_read_b128 v[6:9], v50
	ds_read_b128 v[2:5], v50 offset:16
	v_add_co_u32_e64 v12, s[36:37], v51, v10
	v_addc_co_u32_e64 v13, s[36:37], 0, v52, s[36:37]
	v_mov_b32_e32 v72, 0x80
	v_mov_b32_e32 v73, 0x80
	;; [unrolled: 1-line block ×15, first 2 shown]
	s_waitcnt lgkmcnt(0)
	s_barrier
	s_and_saveexec_b64 s[36:37], s[34:35]
	s_cbranch_execnz .LBB74_56
; %bb.41:                               ;   in Loop: Header=BB74_8 Depth=1
	s_or_b64 exec, exec, s[36:37]
	v_mov_b32_e32 v87, v72
	s_and_saveexec_b64 s[34:35], s[30:31]
	s_cbranch_execnz .LBB74_57
.LBB74_42:                              ;   in Loop: Header=BB74_8 Depth=1
	s_or_b64 exec, exec, s[34:35]
	s_and_saveexec_b64 s[30:31], s[28:29]
	s_cbranch_execnz .LBB74_58
.LBB74_43:                              ;   in Loop: Header=BB74_8 Depth=1
	s_or_b64 exec, exec, s[30:31]
	s_and_saveexec_b64 s[28:29], s[26:27]
	s_cbranch_execnz .LBB74_59
.LBB74_44:                              ;   in Loop: Header=BB74_8 Depth=1
	s_or_b64 exec, exec, s[28:29]
	s_and_saveexec_b64 s[26:27], s[24:25]
	s_cbranch_execnz .LBB74_60
.LBB74_45:                              ;   in Loop: Header=BB74_8 Depth=1
	s_or_b64 exec, exec, s[26:27]
	s_and_saveexec_b64 s[24:25], s[22:23]
	s_cbranch_execnz .LBB74_61
.LBB74_46:                              ;   in Loop: Header=BB74_8 Depth=1
	s_or_b64 exec, exec, s[24:25]
	s_and_saveexec_b64 s[22:23], s[20:21]
	s_cbranch_execnz .LBB74_62
.LBB74_47:                              ;   in Loop: Header=BB74_8 Depth=1
	s_or_b64 exec, exec, s[22:23]
	s_and_saveexec_b64 s[20:21], s[18:19]
	s_cbranch_execnz .LBB74_63
.LBB74_48:                              ;   in Loop: Header=BB74_8 Depth=1
	s_or_b64 exec, exec, s[20:21]
	s_and_saveexec_b64 s[18:19], s[16:17]
	s_cbranch_execnz .LBB74_64
.LBB74_49:                              ;   in Loop: Header=BB74_8 Depth=1
	s_or_b64 exec, exec, s[18:19]
	s_and_saveexec_b64 s[16:17], s[14:15]
	s_cbranch_execnz .LBB74_65
.LBB74_50:                              ;   in Loop: Header=BB74_8 Depth=1
	s_or_b64 exec, exec, s[16:17]
	s_and_saveexec_b64 s[14:15], s[12:13]
	s_cbranch_execnz .LBB74_66
.LBB74_51:                              ;   in Loop: Header=BB74_8 Depth=1
	s_or_b64 exec, exec, s[14:15]
	s_and_saveexec_b64 s[12:13], s[10:11]
	s_cbranch_execnz .LBB74_67
.LBB74_52:                              ;   in Loop: Header=BB74_8 Depth=1
	s_or_b64 exec, exec, s[12:13]
	s_and_saveexec_b64 s[10:11], s[8:9]
	s_cbranch_execnz .LBB74_68
.LBB74_53:                              ;   in Loop: Header=BB74_8 Depth=1
	s_or_b64 exec, exec, s[10:11]
	s_and_saveexec_b64 s[8:9], s[6:7]
	s_cbranch_execnz .LBB74_69
.LBB74_54:                              ;   in Loop: Header=BB74_8 Depth=1
	s_or_b64 exec, exec, s[8:9]
	s_and_saveexec_b64 s[6:7], s[4:5]
	s_cbranch_execnz .LBB74_70
.LBB74_55:                              ;   in Loop: Header=BB74_8 Depth=1
	s_or_b64 exec, exec, s[6:7]
	s_and_saveexec_b64 s[4:5], vcc
	s_cbranch_execz .LBB74_7
	s_branch .LBB74_71
.LBB74_56:                              ;   in Loop: Header=BB74_8 Depth=1
	global_load_ubyte v73, v[12:13], off
	v_mov_b32_e32 v72, 0x80
	v_mov_b32_e32 v74, 0x80
	v_mov_b32_e32 v75, 0x80
	v_mov_b32_e32 v76, 0x80
	v_mov_b32_e32 v77, 0x80
	v_mov_b32_e32 v78, 0x80
	v_mov_b32_e32 v79, 0x80
	v_mov_b32_e32 v80, 0x80
	v_mov_b32_e32 v81, 0x80
	v_mov_b32_e32 v82, 0x80
	v_mov_b32_e32 v83, 0x80
	v_mov_b32_e32 v84, 0x80
	v_mov_b32_e32 v85, 0x80
	v_mov_b32_e32 v86, 0x80
	s_or_b64 exec, exec, s[36:37]
	v_mov_b32_e32 v87, v72
	s_and_saveexec_b64 s[34:35], s[30:31]
	s_cbranch_execz .LBB74_42
.LBB74_57:                              ;   in Loop: Header=BB74_8 Depth=1
	global_load_ubyte v87, v[12:13], off offset:64
	s_or_b64 exec, exec, s[34:35]
	s_and_saveexec_b64 s[30:31], s[28:29]
	s_cbranch_execz .LBB74_43
.LBB74_58:                              ;   in Loop: Header=BB74_8 Depth=1
	global_load_ubyte v72, v[12:13], off offset:128
	s_or_b64 exec, exec, s[30:31]
	s_and_saveexec_b64 s[28:29], s[26:27]
	s_cbranch_execz .LBB74_44
.LBB74_59:                              ;   in Loop: Header=BB74_8 Depth=1
	global_load_ubyte v74, v[12:13], off offset:192
	s_or_b64 exec, exec, s[28:29]
	s_and_saveexec_b64 s[26:27], s[24:25]
	s_cbranch_execz .LBB74_45
.LBB74_60:                              ;   in Loop: Header=BB74_8 Depth=1
	global_load_ubyte v75, v[12:13], off offset:256
	s_or_b64 exec, exec, s[26:27]
	s_and_saveexec_b64 s[24:25], s[22:23]
	s_cbranch_execz .LBB74_46
.LBB74_61:                              ;   in Loop: Header=BB74_8 Depth=1
	global_load_ubyte v76, v[12:13], off offset:320
	s_or_b64 exec, exec, s[24:25]
	s_and_saveexec_b64 s[22:23], s[20:21]
	s_cbranch_execz .LBB74_47
.LBB74_62:                              ;   in Loop: Header=BB74_8 Depth=1
	global_load_ubyte v77, v[12:13], off offset:384
	s_or_b64 exec, exec, s[22:23]
	s_and_saveexec_b64 s[20:21], s[18:19]
	s_cbranch_execz .LBB74_48
.LBB74_63:                              ;   in Loop: Header=BB74_8 Depth=1
	global_load_ubyte v78, v[12:13], off offset:448
	s_or_b64 exec, exec, s[20:21]
	s_and_saveexec_b64 s[18:19], s[16:17]
	s_cbranch_execz .LBB74_49
.LBB74_64:                              ;   in Loop: Header=BB74_8 Depth=1
	global_load_ubyte v79, v[12:13], off offset:512
	s_or_b64 exec, exec, s[18:19]
	s_and_saveexec_b64 s[16:17], s[14:15]
	s_cbranch_execz .LBB74_50
.LBB74_65:                              ;   in Loop: Header=BB74_8 Depth=1
	global_load_ubyte v80, v[12:13], off offset:576
	s_or_b64 exec, exec, s[16:17]
	s_and_saveexec_b64 s[14:15], s[12:13]
	s_cbranch_execz .LBB74_51
.LBB74_66:                              ;   in Loop: Header=BB74_8 Depth=1
	global_load_ubyte v81, v[12:13], off offset:640
	s_or_b64 exec, exec, s[14:15]
	s_and_saveexec_b64 s[12:13], s[10:11]
	s_cbranch_execz .LBB74_52
.LBB74_67:                              ;   in Loop: Header=BB74_8 Depth=1
	global_load_ubyte v82, v[12:13], off offset:704
	s_or_b64 exec, exec, s[12:13]
	s_and_saveexec_b64 s[10:11], s[8:9]
	s_cbranch_execz .LBB74_53
.LBB74_68:                              ;   in Loop: Header=BB74_8 Depth=1
	global_load_ubyte v83, v[12:13], off offset:768
	s_or_b64 exec, exec, s[10:11]
	s_and_saveexec_b64 s[8:9], s[6:7]
	s_cbranch_execz .LBB74_54
.LBB74_69:                              ;   in Loop: Header=BB74_8 Depth=1
	global_load_ubyte v84, v[12:13], off offset:832
	s_or_b64 exec, exec, s[8:9]
	s_and_saveexec_b64 s[6:7], s[4:5]
	s_cbranch_execz .LBB74_55
.LBB74_70:                              ;   in Loop: Header=BB74_8 Depth=1
	global_load_ubyte v85, v[12:13], off offset:896
	s_or_b64 exec, exec, s[6:7]
	s_and_saveexec_b64 s[4:5], vcc
	s_cbranch_execz .LBB74_7
.LBB74_71:                              ;   in Loop: Header=BB74_8 Depth=1
	global_load_ubyte v86, v[12:13], off offset:960
	s_branch .LBB74_7
.LBB74_72:
	v_and_b32_e32 v2, 63, v1
	v_cmp_ne_u32_e32 vcc, 63, v2
	v_addc_co_u32_e32 v3, vcc, 0, v1, vcc
	v_lshlrev_b32_e32 v4, 2, v3
	ds_bpermute_b32 v3, v4, v71
	v_sub_u32_e64 v10, s33, v29 clamp
	v_add_u32_e32 v5, 1, v1
	v_cmp_gt_u32_e64 s[0:1], 62, v2
	v_add_u32_e32 v7, 2, v1
	s_waitcnt lgkmcnt(0)
	v_cmp_lt_f32_e32 vcc, v71, v3
	v_cndmask_b32_e32 v3, v71, v3, vcc
	v_cmp_lt_u32_e32 vcc, v5, v10
	v_cndmask_b32_e64 v5, 0, 1, s[0:1]
	v_lshlrev_b32_e32 v5, 1, v5
	v_cndmask_b32_e32 v3, v71, v3, vcc
	v_add_lshl_u32 v5, v5, v1, 2
	ds_bpermute_b32 v6, v5, v3
	v_cmp_gt_u32_e64 s[2:3], 60, v2
	v_add_u32_e32 v8, 4, v1
	v_cmp_gt_u32_e64 s[4:5], 56, v2
	v_add_u32_e32 v9, 8, v1
	s_waitcnt lgkmcnt(0)
	v_cmp_lt_f32_e64 s[0:1], v3, v6
	v_cndmask_b32_e64 v6, v3, v6, s[0:1]
	v_cmp_lt_u32_e64 s[0:1], v7, v10
	v_cndmask_b32_e64 v3, v3, v6, s[0:1]
	v_cndmask_b32_e64 v6, 0, 1, s[2:3]
	v_lshlrev_b32_e32 v6, 2, v6
	v_add_lshl_u32 v6, v6, v1, 2
	ds_bpermute_b32 v7, v6, v3
	v_cmp_gt_u32_e64 s[6:7], 48, v2
	v_cmp_gt_u32_e64 s[8:9], 32, v2
	v_add_u32_e32 v11, 16, v1
	v_cndmask_b32_e64 v2, 0, 1, s[8:9]
	s_waitcnt lgkmcnt(0)
	v_cmp_lt_f32_e64 s[2:3], v3, v7
	v_cndmask_b32_e64 v7, v3, v7, s[2:3]
	v_cmp_lt_u32_e64 s[2:3], v8, v10
	v_cndmask_b32_e64 v3, v3, v7, s[2:3]
	v_cndmask_b32_e64 v7, 0, 1, s[4:5]
	v_lshlrev_b32_e32 v7, 3, v7
	v_add_lshl_u32 v7, v7, v1, 2
	ds_bpermute_b32 v8, v7, v3
	v_lshlrev_b32_e32 v2, 5, v2
	s_waitcnt lgkmcnt(0)
	s_barrier
	v_cmp_lt_f32_e64 s[4:5], v3, v8
	v_cndmask_b32_e64 v8, v3, v8, s[4:5]
	v_cmp_lt_u32_e64 s[4:5], v9, v10
	v_cndmask_b32_e64 v3, v3, v8, s[4:5]
	v_cndmask_b32_e64 v8, 0, 1, s[6:7]
	v_lshlrev_b32_e32 v8, 4, v8
	v_add_lshl_u32 v8, v8, v1, 2
	ds_bpermute_b32 v9, v8, v3
	s_or_b64 s[6:7], vcc, s[0:1]
	s_or_b64 s[10:11], s[2:3], s[6:7]
	s_or_b64 s[8:9], s[4:5], s[10:11]
	s_waitcnt lgkmcnt(0)
	v_cmp_lt_f32_e64 s[6:7], v3, v9
	v_cndmask_b32_e64 v9, v3, v9, s[6:7]
	v_cmp_lt_u32_e64 s[6:7], v11, v10
	v_cndmask_b32_e64 v3, v3, v9, s[6:7]
	v_add_lshl_u32 v9, v2, v1, 2
	ds_bpermute_b32 v2, v9, v3
	v_add_u32_e32 v11, 32, v1
	s_or_b64 s[12:13], s[6:7], s[8:9]
	v_cmp_lt_u32_e64 s[8:9], v11, v10
	s_waitcnt lgkmcnt(0)
	v_cmp_lt_f32_e64 s[10:11], v3, v2
	s_and_b64 s[10:11], s[8:9], s[10:11]
	v_cndmask_b32_e64 v2, v3, v2, s[10:11]
	s_or_b64 s[10:11], s[8:9], s[12:13]
	v_cndmask_b32_e64 v2, v71, v2, s[10:11]
	v_cmp_eq_u32_e64 s[12:13], 0, v1
	s_and_saveexec_b64 s[10:11], s[12:13]
	s_cbranch_execz .LBB74_74
; %bb.73:
	v_lshrrev_b32_e32 v3, 4, v0
	v_and_b32_e32 v3, 12, v3
	ds_write_b32 v3, v2
.LBB74_74:
	s_or_b64 exec, exec, s[10:11]
	v_cmp_gt_u32_e64 s[10:11], 4, v0
	s_waitcnt lgkmcnt(0)
	s_barrier
	s_and_saveexec_b64 s[20:21], s[10:11]
	s_cbranch_execz .LBB74_76
; %bb.75:
	v_lshlrev_b32_e32 v2, 2, v1
	ds_read_b32 v2, v2
	v_and_b32_e32 v3, 3, v1
	v_cmp_ne_u32_e64 s[14:15], 3, v3
	v_addc_co_u32_e64 v10, s[14:15], 0, v1, s[14:15]
	v_lshlrev_b32_e32 v10, 2, v10
	s_waitcnt lgkmcnt(0)
	ds_bpermute_b32 v10, v10, v2
	s_add_i32 s14, s33, 63
	v_cmp_gt_u32_e64 s[16:17], 2, v3
	s_lshr_b32 s18, s14, 6
	v_add_u32_e32 v11, 1, v3
	s_waitcnt lgkmcnt(0)
	v_cmp_lt_f32_e64 s[14:15], v2, v10
	v_cndmask_b32_e64 v12, 0, 1, s[16:17]
	v_cndmask_b32_e64 v10, v2, v10, s[14:15]
	v_cmp_gt_u32_e64 s[14:15], s18, v11
	v_lshlrev_b32_e32 v12, 1, v12
	v_cndmask_b32_e64 v11, v2, v10, s[14:15]
	v_add_lshl_u32 v12, v12, v1, 2
	ds_bpermute_b32 v11, v12, v11
	v_add_u32_e32 v3, 2, v3
	v_cmp_gt_u32_e64 s[16:17], s18, v3
	s_waitcnt lgkmcnt(0)
	v_cmp_lt_f32_e64 s[18:19], v10, v11
	s_and_b64 s[16:17], s[16:17], s[18:19]
	v_cndmask_b32_e64 v3, v10, v11, s[16:17]
	v_cndmask_b32_e64 v2, v2, v3, s[14:15]
.LBB74_76:
	s_or_b64 exec, exec, s[20:21]
	v_cmp_eq_u32_e64 s[14:15], 0, v0
	s_and_saveexec_b64 s[20:21], s[14:15]
	s_cbranch_execz .LBB74_81
; %bb.77:
	v_mov_b32_e32 v10, 0
	global_load_dword v3, v10, s[42:43] glc
	s_brev_b32 s18, 1
	v_cmp_eq_f32_e64 s[16:17], 0, v2
	s_mov_b64 s[22:23], 0
                                        ; implicit-def: $sgpr24_sgpr25
                                        ; implicit-def: $sgpr28_sgpr29
	s_waitcnt vmcnt(0)
	v_cmp_eq_u32_e64 s[26:27], s18, v3
	s_branch .LBB74_79
.LBB74_78:                              ;   in Loop: Header=BB74_79 Depth=1
	s_or_b64 exec, exec, s[30:31]
	s_and_b64 s[18:19], exec, s[24:25]
	s_or_b64 s[22:23], s[18:19], s[22:23]
	s_andn2_b64 s[18:19], s[26:27], exec
	s_and_b64 s[26:27], s[28:29], exec
	s_or_b64 s[26:27], s[18:19], s[26:27]
	s_andn2_b64 exec, exec, s[22:23]
	s_cbranch_execz .LBB74_81
.LBB74_79:                              ; =>This Inner Loop Header: Depth=1
	v_cmp_lt_f32_e64 s[18:19], v3, v2
	s_and_b64 s[30:31], s[16:17], s[26:27]
	s_or_b64 s[18:19], s[18:19], s[30:31]
	s_andn2_b64 s[28:29], s[28:29], exec
	s_or_b64 s[24:25], s[24:25], exec
	s_and_saveexec_b64 s[30:31], s[18:19]
	s_cbranch_execz .LBB74_78
; %bb.80:                               ;   in Loop: Header=BB74_79 Depth=1
	global_atomic_cmpswap v11, v10, v[2:3], s[42:43] glc
	s_andn2_b64 s[28:29], s[28:29], exec
	s_andn2_b64 s[24:25], s[24:25], exec
                                        ; implicit-def: $sgpr26_sgpr27
	s_waitcnt vmcnt(0)
	v_cmp_eq_u32_e64 s[18:19], v11, v3
	v_cndmask_b32_e64 v3, v11, v3, s[18:19]
	v_cmp_class_f32_e64 s[34:35], v3, 32
	s_and_b64 s[18:19], s[18:19], exec
	s_and_b64 s[34:35], s[34:35], exec
	s_or_b64 s[24:25], s[24:25], s[18:19]
	s_or_b64 s[28:29], s[28:29], s[34:35]
	v_mov_b32_e32 v3, v11
	s_branch .LBB74_78
.LBB74_81:
	s_or_b64 exec, exec, s[20:21]
	s_cmp_eq_u64 s[38:39], 0
	s_cbranch_scc1 .LBB74_92
; %bb.82:
	ds_bpermute_b32 v2, v4, v14
	s_waitcnt lgkmcnt(0)
	s_barrier
	v_add_f32_e32 v2, v14, v2
	v_cndmask_b32_e32 v2, v14, v2, vcc
	ds_bpermute_b32 v3, v5, v2
	s_waitcnt lgkmcnt(0)
	v_add_f32_e32 v3, v2, v3
	v_cndmask_b32_e64 v2, v2, v3, s[0:1]
	ds_bpermute_b32 v3, v6, v2
	s_waitcnt lgkmcnt(0)
	v_add_f32_e32 v3, v2, v3
	v_cndmask_b32_e64 v2, v2, v3, s[2:3]
	;; [unrolled: 4-line block ×5, first 2 shown]
	s_and_saveexec_b64 s[0:1], s[12:13]
	s_cbranch_execz .LBB74_84
; %bb.83:
	v_lshrrev_b32_e32 v0, 4, v0
	v_and_b32_e32 v0, 12, v0
	ds_write_b32 v0, v2
.LBB74_84:
	s_or_b64 exec, exec, s[0:1]
	s_waitcnt lgkmcnt(0)
	s_barrier
	s_and_saveexec_b64 s[2:3], s[10:11]
	s_cbranch_execz .LBB74_86
; %bb.85:
	v_lshlrev_b32_e32 v0, 2, v1
	ds_read_b32 v0, v0
	v_and_b32_e32 v2, 3, v1
	v_cmp_ne_u32_e32 vcc, 3, v2
	v_addc_co_u32_e32 v3, vcc, 0, v1, vcc
	v_lshlrev_b32_e32 v3, 2, v3
	s_waitcnt lgkmcnt(0)
	ds_bpermute_b32 v3, v3, v0
	s_add_i32 s33, s33, 63
	s_lshr_b32 s4, s33, 6
	v_add_u32_e32 v4, 1, v2
	v_cmp_gt_u32_e64 s[0:1], 2, v2
	v_cmp_gt_u32_e32 vcc, s4, v4
	v_cndmask_b32_e64 v4, 0, 1, s[0:1]
	s_waitcnt lgkmcnt(0)
	v_add_f32_e32 v3, v0, v3
	v_lshlrev_b32_e32 v4, 1, v4
	v_cndmask_b32_e32 v3, v0, v3, vcc
	v_add_lshl_u32 v1, v4, v1, 2
	ds_bpermute_b32 v1, v1, v3
	v_add_u32_e32 v2, 2, v2
	v_cmp_gt_u32_e64 s[0:1], s4, v2
	s_waitcnt lgkmcnt(0)
	v_add_f32_e32 v1, v3, v1
	v_cndmask_b32_e64 v1, v3, v1, s[0:1]
	v_cndmask_b32_e32 v2, v0, v1, vcc
.LBB74_86:
	s_or_b64 exec, exec, s[2:3]
	s_and_saveexec_b64 s[0:1], s[14:15]
	s_cbranch_execz .LBB74_92
; %bb.87:
	s_mov_b64 s[0:1], exec
	v_bfrev_b32_e32 v3, 1
.LBB74_88:                              ; =>This Inner Loop Header: Depth=1
	s_ff1_i32_b64 s2, s[0:1]
	v_readlane_b32 s4, v2, s2
	s_lshl_b64 s[2:3], 1, s2
	s_andn2_b64 s[0:1], s[0:1], s[2:3]
	s_cmp_lg_u64 s[0:1], 0
	v_add_f32_e32 v3, s4, v3
	s_cbranch_scc1 .LBB74_88
; %bb.89:
	v_mbcnt_lo_u32_b32 v0, exec_lo, 0
	v_mbcnt_hi_u32_b32 v0, exec_hi, v0
	v_cmp_eq_u32_e32 vcc, 0, v0
	s_and_saveexec_b64 s[0:1], vcc
	s_xor_b64 s[0:1], exec, s[0:1]
	s_cbranch_execz .LBB74_92
; %bb.90:
	v_mov_b32_e32 v2, 0
	global_load_dword v1, v2, s[38:39]
	s_mov_b64 s[0:1], 0
.LBB74_91:                              ; =>This Inner Loop Header: Depth=1
	s_waitcnt vmcnt(0)
	v_add_f32_e32 v0, v1, v3
	global_atomic_cmpswap v0, v2, v[0:1], s[38:39] glc
	s_waitcnt vmcnt(0)
	v_cmp_eq_u32_e32 vcc, v0, v1
	s_or_b64 s[0:1], vcc, s[0:1]
	v_mov_b32_e32 v1, v0
	s_andn2_b64 exec, exec, s[0:1]
	s_cbranch_execnz .LBB74_91
.LBB74_92:
	s_endpgm
	.section	.rodata,"a",@progbits
	.p2align	6, 0x0
	.amdhsa_kernel _Z38kPreconditionOptimizerStatic8bit1StateI6__halfLi1EEvPT_S2_PhPffffiS4_S4_S4_ffi
		.amdhsa_group_segment_fixed_size 9472
		.amdhsa_private_segment_fixed_size 0
		.amdhsa_kernarg_size 344
		.amdhsa_user_sgpr_count 6
		.amdhsa_user_sgpr_private_segment_buffer 1
		.amdhsa_user_sgpr_dispatch_ptr 0
		.amdhsa_user_sgpr_queue_ptr 0
		.amdhsa_user_sgpr_kernarg_segment_ptr 1
		.amdhsa_user_sgpr_dispatch_id 0
		.amdhsa_user_sgpr_flat_scratch_init 0
		.amdhsa_user_sgpr_kernarg_preload_length 0
		.amdhsa_user_sgpr_kernarg_preload_offset 0
		.amdhsa_user_sgpr_private_segment_size 0
		.amdhsa_uses_dynamic_stack 0
		.amdhsa_system_sgpr_private_segment_wavefront_offset 0
		.amdhsa_system_sgpr_workgroup_id_x 1
		.amdhsa_system_sgpr_workgroup_id_y 0
		.amdhsa_system_sgpr_workgroup_id_z 0
		.amdhsa_system_sgpr_workgroup_info 0
		.amdhsa_system_vgpr_workitem_id 0
		.amdhsa_next_free_vgpr 88
		.amdhsa_next_free_sgpr 47
		.amdhsa_accum_offset 88
		.amdhsa_reserve_vcc 1
		.amdhsa_reserve_flat_scratch 0
		.amdhsa_float_round_mode_32 0
		.amdhsa_float_round_mode_16_64 0
		.amdhsa_float_denorm_mode_32 3
		.amdhsa_float_denorm_mode_16_64 3
		.amdhsa_dx10_clamp 1
		.amdhsa_ieee_mode 1
		.amdhsa_fp16_overflow 0
		.amdhsa_tg_split 0
		.amdhsa_exception_fp_ieee_invalid_op 0
		.amdhsa_exception_fp_denorm_src 0
		.amdhsa_exception_fp_ieee_div_zero 0
		.amdhsa_exception_fp_ieee_overflow 0
		.amdhsa_exception_fp_ieee_underflow 0
		.amdhsa_exception_fp_ieee_inexact 0
		.amdhsa_exception_int_div_zero 0
	.end_amdhsa_kernel
	.section	.text._Z38kPreconditionOptimizerStatic8bit1StateI6__halfLi1EEvPT_S2_PhPffffiS4_S4_S4_ffi,"axG",@progbits,_Z38kPreconditionOptimizerStatic8bit1StateI6__halfLi1EEvPT_S2_PhPffffiS4_S4_S4_ffi,comdat
.Lfunc_end74:
	.size	_Z38kPreconditionOptimizerStatic8bit1StateI6__halfLi1EEvPT_S2_PhPffffiS4_S4_S4_ffi, .Lfunc_end74-_Z38kPreconditionOptimizerStatic8bit1StateI6__halfLi1EEvPT_S2_PhPffffiS4_S4_S4_ffi
                                        ; -- End function
	.section	.AMDGPU.csdata,"",@progbits
; Kernel info:
; codeLenInByte = 4908
; NumSgprs: 51
; NumVgprs: 88
; NumAgprs: 0
; TotalNumVgprs: 88
; ScratchSize: 0
; MemoryBound: 0
; FloatMode: 240
; IeeeMode: 1
; LDSByteSize: 9472 bytes/workgroup (compile time only)
; SGPRBlocks: 6
; VGPRBlocks: 10
; NumSGPRsForWavesPerEU: 51
; NumVGPRsForWavesPerEU: 88
; AccumOffset: 88
; Occupancy: 5
; WaveLimiterHint : 0
; COMPUTE_PGM_RSRC2:SCRATCH_EN: 0
; COMPUTE_PGM_RSRC2:USER_SGPR: 6
; COMPUTE_PGM_RSRC2:TRAP_HANDLER: 0
; COMPUTE_PGM_RSRC2:TGID_X_EN: 1
; COMPUTE_PGM_RSRC2:TGID_Y_EN: 0
; COMPUTE_PGM_RSRC2:TGID_Z_EN: 0
; COMPUTE_PGM_RSRC2:TIDIG_COMP_CNT: 0
; COMPUTE_PGM_RSRC3_GFX90A:ACCUM_OFFSET: 21
; COMPUTE_PGM_RSRC3_GFX90A:TG_SPLIT: 0
	.section	.text._Z38kPreconditionOptimizerStatic8bit1StateIfLi1EEvPT_S1_PhPffffiS3_S3_S3_ffi,"axG",@progbits,_Z38kPreconditionOptimizerStatic8bit1StateIfLi1EEvPT_S1_PhPffffiS3_S3_S3_ffi,comdat
